;; amdgpu-corpus repo=ROCm/rocFFT kind=compiled arch=gfx950 opt=O3
	.text
	.amdgcn_target "amdgcn-amd-amdhsa--gfx950"
	.amdhsa_code_object_version 6
	.protected	fft_rtc_back_len49_factors_7_7_wgs_196_tpt_7_sp_op_CI_CI_sbrc_z_xy_unaligned ; -- Begin function fft_rtc_back_len49_factors_7_7_wgs_196_tpt_7_sp_op_CI_CI_sbrc_z_xy_unaligned
	.globl	fft_rtc_back_len49_factors_7_7_wgs_196_tpt_7_sp_op_CI_CI_sbrc_z_xy_unaligned
	.p2align	8
	.type	fft_rtc_back_len49_factors_7_7_wgs_196_tpt_7_sp_op_CI_CI_sbrc_z_xy_unaligned,@function
fft_rtc_back_len49_factors_7_7_wgs_196_tpt_7_sp_op_CI_CI_sbrc_z_xy_unaligned: ; @fft_rtc_back_len49_factors_7_7_wgs_196_tpt_7_sp_op_CI_CI_sbrc_z_xy_unaligned
; %bb.0:
	s_load_dwordx8 s[4:11], s[0:1], 0x0
	s_waitcnt lgkmcnt(0)
	s_load_dwordx4 s[12:15], s[8:9], 0x8
	s_waitcnt lgkmcnt(0)
	s_add_i32 s3, s12, -1
	s_lshr_b32 s3, s3, 2
	s_mul_hi_u32 s3, s3, 0x24924925
	s_add_i32 s8, s3, 1
	s_mul_i32 s9, s8, s14
	v_cvt_f32_u32_e32 v2, s9
	v_cvt_f32_u32_e32 v1, s8
	s_sub_i32 s13, 0, s9
	s_load_dwordx2 s[14:15], s[0:1], 0x20
	s_load_dwordx4 s[16:19], s[10:11], 0x0
	v_rcp_iflag_f32_e32 v2, v2
	v_rcp_iflag_f32_e32 v1, v1
	s_waitcnt lgkmcnt(0)
	s_load_dword s19, s[10:11], 0x10
	v_mul_f32_e32 v2, 0x4f7ffffe, v2
	v_cvt_u32_f32_e32 v2, v2
	v_mul_f32_e32 v1, 0x4f7ffffe, v1
	v_cvt_u32_f32_e32 v1, v1
	v_readfirstlane_b32 s21, v2
	s_mul_i32 s13, s13, s21
	s_mul_hi_u32 s13, s21, s13
	s_add_i32 s21, s21, s13
	s_mul_hi_u32 s13, s2, s21
	s_mul_i32 s21, s13, s9
	s_sub_i32 s21, s2, s21
	s_add_i32 s22, s13, 1
	s_sub_i32 s23, s21, s9
	s_cmp_ge_u32 s21, s9
	s_cselect_b32 s13, s22, s13
	s_cselect_b32 s21, s23, s21
	s_add_i32 s22, s13, 1
	s_cmp_ge_u32 s21, s9
	v_readfirstlane_b32 s20, v1
	s_cselect_b32 s13, s22, s13
	s_not_b32 s3, s3
	s_mul_i32 s3, s3, s20
	s_mul_i32 s9, s13, s9
	s_mul_hi_u32 s3, s20, s3
	s_sub_i32 s9, s2, s9
	s_add_i32 s20, s20, s3
	s_mul_hi_u32 s3, s9, s20
	s_mul_i32 s21, s3, s8
	s_sub_i32 s9, s9, s21
	s_add_i32 s22, s3, 1
	s_sub_i32 s21, s9, s8
	s_cmp_ge_u32 s9, s8
	s_cselect_b32 s3, s22, s3
	s_cselect_b32 s9, s21, s9
	s_add_i32 s21, s3, 1
	s_cmp_ge_u32 s9, s8
	s_cselect_b32 s33, s21, s3
	s_mul_hi_u32 s3, s2, s20
	s_mul_i32 s3, s3, s8
	s_sub_i32 s3, s2, s3
	s_sub_i32 s9, s3, s8
	s_cmp_ge_u32 s3, s8
	s_cselect_b32 s3, s9, s3
	s_sub_i32 s9, s3, s8
	s_cmp_ge_u32 s3, s8
	s_cselect_b32 s3, s9, s3
	s_mul_i32 s34, s3, 28
	s_waitcnt lgkmcnt(0)
	s_mul_i32 s8, s33, s19
	s_mul_i32 s9, s34, s18
	s_add_i32 s19, s9, s8
	s_lshl_b64 s[20:21], s[6:7], 3
	s_add_u32 s24, s10, s20
	s_addc_u32 s25, s11, s21
	s_load_dwordx2 s[26:27], s[24:25], 0x0
	s_load_dwordx2 s[22:23], s[0:1], 0x58
	s_load_dwordx4 s[8:11], s[14:15], 0x0
	s_load_dwordx2 s[6:7], s[14:15], 0x10
	v_mul_u32_u24_e32 v1, 0x53a, v0
	s_waitcnt lgkmcnt(0)
	s_mul_i32 s7, s27, s13
	s_mul_hi_u32 s11, s26, s13
	s_add_i32 s11, s11, s7
	s_mul_i32 s7, s26, s13
	s_add_u32 s24, s7, s19
	s_addc_u32 s25, s11, 0
	s_add_u32 s14, s14, s20
	s_addc_u32 s15, s15, s21
	s_load_dwordx2 s[14:15], s[14:15], 0x0
	s_add_i32 s7, s34, 28
	s_cmp_le_u32 s7, s12
	v_lshrrev_b32_e32 v2, 16, v1
	s_cselect_b64 s[20:21], -1, 0
	v_mul_lo_u16_e32 v1, 49, v2
	v_sub_u16_e32 v3, v0, v1
	s_mov_b64 s[26:27], -1
	s_and_b64 vcc, exec, s[20:21]
	s_cbranch_vccnz .LBB0_14
; %bb.1:
	v_add_u32_e32 v1, s34, v2
	v_cmp_gt_u32_e32 vcc, s12, v1
	s_and_saveexec_b64 s[26:27], vcc
	s_cbranch_execz .LBB0_13
; %bb.2:
	v_mad_u64_u32 v[4:5], s[28:29], s16, v3, 0
	v_mov_b32_e32 v6, v5
	v_mad_u64_u32 v[6:7], s[28:29], s17, v3, v[6:7]
	s_lshl_b64 s[28:29], s[24:25], 3
	s_add_u32 s28, s22, s28
	s_addc_u32 s29, s23, s29
	s_mul_i32 s7, s2, 28
	s_sub_i32 s2, s2, s3
	v_add_u32_e32 v1, s7, v2
	s_mul_i32 s2, s2, 28
	v_subrev_u32_e32 v1, s2, v1
	v_add_u32_e32 v1, 4, v1
	v_mov_b32_e32 v5, v6
	v_max_u32_e32 v1, s12, v1
	v_not_b32_e32 v6, v2
	v_add3_u32 v1, v1, s2, v6
	v_subrev_u32_e32 v6, s7, v1
	s_movk_i32 s2, 0xcb
	v_lshl_add_u64 v[4:5], v[4:5], 3, s[28:29]
	v_cmp_lt_u32_e32 vcc, s2, v6
	s_mov_b64 s[2:3], 0
                                        ; implicit-def: $vgpr1
                                        ; implicit-def: $vgpr7
                                        ; implicit-def: $sgpr7
	s_and_saveexec_b64 s[28:29], vcc
	s_xor_b64 s[28:29], exec, s[28:29]
	s_cbranch_execnz .LBB0_5
; %bb.3:
	s_or_saveexec_b64 s[28:29], s[28:29]
	v_mov_b32_e32 v8, s7
	s_xor_b64 exec, exec, s[28:29]
	s_cbranch_execnz .LBB0_10
.LBB0_4:
	s_or_b64 exec, exec, s[28:29]
	s_and_b64 exec, exec, s[2:3]
	s_cbranch_execnz .LBB0_11
	s_branch .LBB0_13
.LBB0_5:
	v_mul_u32_u24_e32 v1, 0x188, v2
	v_lshlrev_b32_e32 v7, 3, v3
	v_lshrrev_b32_e32 v6, 2, v6
	v_add3_u32 v8, 0, v1, v7
	s_movk_i32 s2, 0x620
	v_mul_hi_u32 v1, v6, s2
	v_mad_u64_u32 v[10:11], s[2:3], v6, s2, v[8:9]
	v_cmp_ne_u32_e32 vcc, 0, v1
	v_cmp_lt_u32_e64 s[2:3], v10, v8
	v_add_u32_e32 v1, 4, v8
	v_add_u32_e32 v8, 4, v10
	s_or_b64 s[30:31], s[2:3], vcc
	v_cmp_lt_u32_e64 s[2:3], v8, v1
	s_lshl_b32 s7, s18, 2
	s_or_b64 s[36:37], s[2:3], vcc
	s_sub_i32 s35, 0, s7
	s_cmp_gt_i32 s7, -1
	s_cselect_b64 s[2:3], -1, 0
	v_cndmask_b32_e64 v8, 0, -1, s[2:3]
	s_and_b64 s[2:3], s[2:3], exec
	s_cselect_b32 s2, s7, s35
	v_mul_lo_u32 v1, v2, s18
	v_mul_hi_u32 v9, s2, v6
	v_cmp_ne_u32_e32 vcc, 0, v9
	v_mul_lo_u32 v9, s2, v6
	v_xor_b32_e32 v1, v1, v8
	v_cmp_gt_u32_e64 s[2:3], v9, v1
	s_or_b64 s[2:3], s[2:3], vcc
	s_or_b64 s[30:31], s[30:31], s[36:37]
	s_or_b64 s[2:3], s[30:31], s[2:3]
	s_movk_i32 s11, 0x188
	s_mov_b32 s19, 0
	s_mov_b64 s[30:31], -1
	s_xor_b64 s[36:37], s[2:3], -1
	v_mov_b32_e32 v1, 0
	s_and_saveexec_b64 s[2:3], s[36:37]
	s_cbranch_execz .LBB0_9
; %bb.6:
	v_add_u32_e32 v10, 1, v6
	v_and_b32_e32 v11, 0x7ffffffe, v10
	v_lshl_add_u32 v6, v3, 3, 0
	v_mov_b32_e32 v1, v2
	s_mov_b32 s35, s18
	s_mov_b32 s36, 4
	s_mov_b64 s[30:31], 0
	v_mov_b32_e32 v9, 0
	v_mov_b32_e32 v12, v11
.LBB0_7:                                ; =>This Inner Loop Header: Depth=1
	v_add_u32_e32 v13, s19, v2
	v_add_u32_e32 v22, s36, v1
	v_mul_lo_u32 v8, v13, s18
	v_mov_b32_e32 v15, v9
	v_mul_lo_u32 v14, v22, s35
	v_lshl_add_u64 v[16:17], v[8:9], 3, v[4:5]
	v_lshl_add_u64 v[14:15], v[14:15], 3, v[4:5]
	global_load_dwordx2 v[18:19], v[16:17], off
	global_load_dwordx2 v[20:21], v[14:15], off
	v_add_u32_e32 v12, -2, v12
	s_add_i32 s19, s19, 8
	s_add_i32 s36, s36, 8
	v_cmp_eq_u32_e32 vcc, 0, v12
	v_mad_u64_u32 v[14:15], s[38:39], v13, s11, v[6:7]
	s_or_b64 s[30:31], vcc, s[30:31]
	v_mad_u64_u32 v[16:17], s[38:39], v22, s11, v[6:7]
	s_waitcnt vmcnt(1)
	ds_write_b32 v14, v18
	s_waitcnt vmcnt(0)
	ds_write_b32 v16, v20
	ds_write_b32 v14, v19 offset:4
	ds_write_b32 v16, v21 offset:4
	s_andn2_b64 exec, exec, s[30:31]
	s_cbranch_execnz .LBB0_7
; %bb.8:
	s_or_b64 exec, exec, s[30:31]
	v_cmp_ne_u32_e32 vcc, v10, v11
	v_lshlrev_b32_e32 v1, 2, v11
	s_orn2_b64 s[30:31], vcc, exec
.LBB0_9:
	s_or_b64 exec, exec, s[2:3]
	s_and_b64 s[2:3], s[30:31], exec
	s_or_saveexec_b64 s[28:29], s[28:29]
	v_mov_b32_e32 v8, s7
	s_xor_b64 exec, exec, s[28:29]
	s_cbranch_execz .LBB0_4
.LBB0_10:
	s_lshl_b32 s7, s18, 2
	v_lshlrev_b32_e32 v7, 3, v3
	v_mov_b32_e32 v1, 0
	v_mov_b32_e32 v8, s7
	s_or_b64 s[2:3], s[2:3], exec
	s_or_b64 exec, exec, s[28:29]
	s_and_b64 exec, exec, s[2:3]
	s_cbranch_execz .LBB0_13
.LBB0_11:
	v_add_u32_e32 v9, v1, v2
	s_movk_i32 s2, 0x188
	v_mul_lo_u32 v1, v9, s2
	v_add3_u32 v1, v1, v7, 0
	v_mul_lo_u32 v6, v9, s18
	v_add_u32_e32 v9, s34, v9
	s_mov_b64 s[2:3], 0
	v_mov_b32_e32 v7, 0
.LBB0_12:                               ; =>This Inner Loop Header: Depth=1
	v_lshl_add_u64 v[10:11], v[6:7], 3, v[4:5]
	global_load_dwordx2 v[10:11], v[10:11], off
	v_add_u32_e32 v9, 4, v9
	v_cmp_le_u32_e32 vcc, s12, v9
	v_add_u32_e32 v6, v6, v8
	s_or_b64 s[2:3], vcc, s[2:3]
	s_waitcnt vmcnt(0)
	ds_write_b64 v1, v[10:11]
	v_add_u32_e32 v1, 0x620, v1
	s_andn2_b64 exec, exec, s[2:3]
	s_cbranch_execnz .LBB0_12
.LBB0_13:
	s_or_b64 exec, exec, s[26:27]
	s_mov_b64 s[26:27], 0
.LBB0_14:
	s_andn2_b64 vcc, exec, s[26:27]
	s_cbranch_vccnz .LBB0_16
; %bb.15:
	v_mad_u64_u32 v[4:5], s[2:3], s16, v3, 0
	v_mov_b32_e32 v6, v5
	v_mad_u64_u32 v[6:7], s[2:3], s17, v3, v[6:7]
	s_lshl_b64 s[2:3], s[24:25], 3
	s_add_u32 s2, s22, s2
	v_mov_b32_e32 v5, v6
	s_addc_u32 s3, s23, s3
	v_mul_lo_u32 v6, s18, v2
	v_mov_b32_e32 v7, 0
	v_lshl_add_u64 v[4:5], v[4:5], 3, s[2:3]
	s_lshl_b32 s2, s18, 2
	v_lshl_add_u64 v[8:9], v[6:7], 3, v[4:5]
	v_add_u32_e32 v6, s2, v6
	v_lshl_add_u64 v[10:11], v[6:7], 3, v[4:5]
	v_add_u32_e32 v6, s2, v6
	;; [unrolled: 2-line block ×4, first 2 shown]
	global_load_dwordx2 v[16:17], v[8:9], off
	global_load_dwordx2 v[18:19], v[10:11], off
	;; [unrolled: 1-line block ×4, first 2 shown]
	v_lshl_add_u64 v[8:9], v[6:7], 3, v[4:5]
	v_add_u32_e32 v6, s2, v6
	v_lshl_add_u64 v[10:11], v[6:7], 3, v[4:5]
	v_add_u32_e32 v6, s2, v6
	v_lshl_add_u64 v[4:5], v[6:7], 3, v[4:5]
	global_load_dwordx2 v[6:7], v[8:9], off
	global_load_dwordx2 v[12:13], v[10:11], off
	;; [unrolled: 1-line block ×3, first 2 shown]
	v_mul_u32_u24_e32 v1, 0x188, v2
	v_lshlrev_b32_e32 v2, 3, v3
	v_add3_u32 v1, 0, v1, v2
	v_add_u32_e32 v2, 0xc00, v1
	s_waitcnt vmcnt(5)
	ds_write2_b64 v1, v[16:17], v[18:19] offset1:196
	s_waitcnt vmcnt(3)
	ds_write2_b64 v2, v[20:21], v[22:23] offset0:8 offset1:204
	v_add_u32_e32 v2, 0x1800, v1
	s_waitcnt vmcnt(1)
	ds_write2_b64 v2, v[6:7], v[12:13] offset0:16 offset1:212
	s_waitcnt vmcnt(0)
	ds_write_b64 v1, v[14:15] offset:9408
.LBB0_16:
	s_movk_i32 s2, 0x2493
	v_mul_u32_u24_sdwa v1, v0, s2 dst_sel:DWORD dst_unused:UNUSED_PAD src0_sel:WORD_0 src1_sel:DWORD
	v_add_u32_sdwa v1, s34, v1 dst_sel:DWORD dst_unused:UNUSED_PAD src0_sel:DWORD src1_sel:WORD_1
	v_lshrrev_b32_e32 v2, 2, v1
	s_mov_b32 s2, 0x24924925
	v_mul_hi_u32 v2, v2, s2
	v_mul_lo_u32 v2, v2, 28
	v_sub_u32_e32 v1, v1, v2
	v_mul_hi_u32 v2, v0, s2
	v_mul_u32_u24_e32 v2, 7, v2
	v_mul_u32_u24_e32 v1, 49, v1
	v_sub_u32_e32 v30, v0, v2
	v_lshlrev_b32_e32 v1, 3, v1
	v_lshlrev_b32_e32 v10, 3, v30
	v_add3_u32 v44, 0, v10, v1
	s_waitcnt lgkmcnt(0)
	s_barrier
	ds_read2_b64 v[2:5], v44 offset0:7 offset1:14
	ds_read2_b64 v[6:9], v44 offset0:35 offset1:42
	v_add3_u32 v1, 0, v1, v10
	ds_read2_b64 v[10:13], v44 offset0:21 offset1:28
	ds_read_b64 v[14:15], v1
	s_mov_b32 s28, 0xbeae86e6
	s_waitcnt lgkmcnt(2)
	v_pk_add_f32 v[16:17], v[2:3], v[8:9]
	v_pk_add_f32 v[18:19], v[2:3], v[8:9] neg_lo:[0,1] neg_hi:[0,1]
	v_pk_add_f32 v[20:21], v[4:5], v[6:7]
	v_pk_add_f32 v[22:23], v[4:5], v[6:7] neg_lo:[0,1] neg_hi:[0,1]
	s_waitcnt lgkmcnt(1)
	v_mov_b32_e32 v4, v10
	v_mov_b32_e32 v6, v12
	;; [unrolled: 1-line block ×4, first 2 shown]
	v_pk_add_f32 v[4:5], v[4:5], v[6:7]
	v_pk_add_f32 v[2:3], v[2:3], v[8:9]
	v_pk_add_f32 v[6:7], v[12:13], v[10:11] neg_lo:[0,1] neg_hi:[0,1]
	v_mov_b32_e32 v21, v5
	v_mov_b32_e32 v16, v2
	;; [unrolled: 1-line block ×6, first 2 shown]
	v_pk_add_f32 v[8:9], v[20:21], v[16:17]
	v_pk_add_f32 v[10:11], v[10:11], v[12:13] neg_lo:[0,1] neg_hi:[0,1]
	v_pk_add_f32 v[12:13], v[2:3], v[4:5] neg_lo:[0,1] neg_hi:[0,1]
	v_mov_b32_e32 v26, v7
	v_mov_b32_e32 v27, v18
	;; [unrolled: 1-line block ×5, first 2 shown]
	s_mov_b32 s18, 0x3d64c772
	s_mov_b32 s29, 0x3f08b237
	v_pk_add_f32 v[24:25], v[6:7], v[22:23]
	v_pk_add_f32 v[26:27], v[26:27], v[28:29] neg_lo:[0,1] neg_hi:[0,1]
	v_mov_b32_e32 v28, v19
	v_mov_b32_e32 v6, v7
	;; [unrolled: 1-line block ×3, first 2 shown]
	v_pk_add_f32 v[2:3], v[4:5], v[8:9]
	s_mov_b32 s19, 0x3f4a47b2
	s_mov_b32 s30, s29
	;; [unrolled: 1-line block ×3, first 2 shown]
	v_pk_add_f32 v[6:7], v[28:29], v[6:7] neg_lo:[0,1] neg_hi:[0,1]
	v_pk_add_f32 v[4:5], v[24:25], v[18:19]
	s_waitcnt lgkmcnt(0)
	v_pk_add_f32 v[8:9], v[2:3], v[14:15]
	s_mov_b32 s16, 0x3f955555
	v_pk_mul_f32 v[10:11], v[10:11], s[18:19]
	s_mov_b32 s22, s19
	s_mov_b32 s23, s18
	;; [unrolled: 1-line block ×3, first 2 shown]
	v_pk_mul_f32 v[26:27], v[26:27], s[30:31]
	v_mad_u32_u24 v31, v30, 48, v44
	v_pk_mul_f32 v[14:15], v[12:13], s[22:23]
	v_pk_mul_f32 v[24:25], v[4:5], s[2:3] op_sel_hi:[1,0]
	v_pk_mul_f32 v[28:29], v[6:7], s[28:29]
	v_pk_fma_f32 v[2:3], v[2:3], s[16:17], v[8:9] op_sel_hi:[1,0,1] neg_lo:[1,0,0] neg_hi:[1,0,0]
	v_pk_fma_f32 v[12:13], v[12:13], s[22:23], v[10:11]
	v_pk_fma_f32 v[6:7], v[6:7], s[28:29], v[26:27]
	v_pk_add_f32 v[12:13], v[12:13], v[2:3]
	v_pk_add_f32 v[6:7], v[24:25], v[6:7] op_sel:[1,0] op_sel_hi:[0,1]
	s_barrier
	ds_write_b64 v31, v[8:9]
	v_pk_add_f32 v[8:9], v[20:21], v[16:17] neg_lo:[0,1] neg_hi:[0,1]
	s_mov_b32 s26, 0x3f3bfb3b
	v_mov_b32_e32 v16, v14
	v_mov_b32_e32 v17, v11
	;; [unrolled: 1-line block ×3, first 2 shown]
	v_pk_add_f32 v[24:25], v[12:13], v[6:7]
	v_pk_add_f32 v[6:7], v[12:13], v[6:7] neg_lo:[0,1] neg_hi:[0,1]
	v_pk_add_f32 v[12:13], v[22:23], v[18:19] neg_lo:[0,1] neg_hi:[0,1]
	s_mov_b32 s24, 0xbf5ff5aa
	v_pk_fma_f32 v[16:17], v[8:9], s[26:27], v[16:17] op_sel_hi:[1,0,1] neg_lo:[1,0,1] neg_hi:[1,0,1]
	v_mov_b32_e32 v18, v27
	v_mov_b32_e32 v19, v28
	v_pk_fma_f32 v[8:9], v[8:9], s[26:27], v[10:11] op_sel_hi:[1,0,1] neg_lo:[0,0,1] neg_hi:[0,0,1]
	v_mov_b32_e32 v10, v29
	v_mov_b32_e32 v11, v26
	v_pk_fma_f32 v[18:19], v[12:13], s[24:25], v[18:19] op_sel_hi:[1,0,1] neg_lo:[1,0,1] neg_hi:[1,0,1]
	v_pk_fma_f32 v[10:11], v[12:13], s[24:25], v[10:11] op_sel_hi:[1,0,1] neg_lo:[0,0,1] neg_hi:[0,0,1]
	v_pk_add_f32 v[16:17], v[16:17], v[2:3]
	v_pk_fma_f32 v[18:19], v[4:5], s[2:3], v[18:19] op_sel_hi:[1,0,1]
	v_pk_add_f32 v[2:3], v[8:9], v[2:3]
	v_pk_fma_f32 v[4:5], v[4:5], s[2:3], v[10:11] op_sel_hi:[1,0,1]
	v_pk_add_f32 v[20:21], v[16:17], v[18:19] op_sel:[0,1] op_sel_hi:[1,0]
	v_pk_add_f32 v[8:9], v[2:3], v[4:5] op_sel:[0,1] op_sel_hi:[1,0] neg_lo:[0,1] neg_hi:[0,1]
	v_pk_add_f32 v[2:3], v[2:3], v[4:5] op_sel:[0,1] op_sel_hi:[1,0]
	v_mov_b32_e32 v4, v8
	v_mov_b32_e32 v5, v3
	;; [unrolled: 1-line block ×3, first 2 shown]
	v_pk_add_f32 v[16:17], v[16:17], v[18:19] op_sel:[0,1] op_sel_hi:[1,0] neg_lo:[0,1] neg_hi:[0,1]
	ds_write2_b64 v31, v[4:5], v[2:3] offset0:3 offset1:4
	v_mul_u32_u24_e32 v2, 6, v30
	v_mov_b32_e32 v18, v24
	v_mov_b32_e32 v19, v7
	;; [unrolled: 1-line block ×6, first 2 shown]
	v_lshlrev_b32_e32 v14, 3, v2
	ds_write2_b64 v31, v[18:19], v[22:23] offset0:1 offset1:2
	ds_write2_b64 v31, v[16:17], v[6:7] offset0:5 offset1:6
	s_waitcnt lgkmcnt(0)
	s_barrier
	global_load_dwordx4 v[2:5], v14, s[4:5] offset:16
	global_load_dwordx4 v[6:9], v14, s[4:5] offset:32
	global_load_dwordx4 v[10:13], v14, s[4:5]
	ds_read_b64 v[26:27], v1
	ds_read2_b64 v[14:17], v44 offset0:7 offset1:14
	ds_read2_b64 v[18:21], v44 offset0:21 offset1:28
	;; [unrolled: 1-line block ×3, first 2 shown]
	s_mov_b32 s3, 0
	s_waitcnt lgkmcnt(0)
	v_mov_b32_e32 v43, v16
	v_mov_b32_e32 v42, v19
	;; [unrolled: 1-line block ×8, first 2 shown]
	s_barrier
	s_waitcnt vmcnt(2)
	v_mov_b32_e32 v38, v2
	s_waitcnt vmcnt(1)
	v_mul_f32_e32 v33, v7, v23
	s_waitcnt vmcnt(0)
	v_mul_f32_e32 v31, v13, v17
	v_fmac_f32_e32 v31, v12, v16
	v_mov_b32_e32 v39, v12
	v_mov_b32_e32 v12, v3
	v_pk_mul_f32 v[12:13], v[12:13], v[42:43]
	v_mul_f32_e32 v1, v11, v14
	v_pk_fma_f32 v[16:17], v[2:3], v[18:19], v[12:13] op_sel_hi:[1,0,1]
	v_mov_b32_e32 v19, v2
	v_mov_b32_e32 v2, v11
	;; [unrolled: 1-line block ×3, first 2 shown]
	v_pk_mul_f32 v[2:3], v[2:3], v[34:35]
	v_mov_b32_e32 v29, v6
	v_fma_f32 v14, v10, v15, -v1
	v_pk_fma_f32 v[12:13], v[38:39], v[40:41], v[12:13] neg_lo:[0,0,1] neg_hi:[0,0,1]
	v_pk_fma_f32 v[10:11], v[18:19], v[36:37], v[2:3]
	v_pk_fma_f32 v[2:3], v[18:19], v[36:37], v[2:3] neg_lo:[0,0,1] neg_hi:[0,0,1]
	v_fmac_f32_e32 v33, v6, v22
	v_mov_b32_e32 v35, v23
	v_mov_b32_e32 v36, v25
	;; [unrolled: 1-line block ×12, first 2 shown]
	v_pk_mul_f32 v[6:7], v[6:7], v[38:39]
	v_mov_b32_e32 v22, v8
	v_pk_mul_f32 v[4:5], v[4:5], v[36:37]
	v_pk_fma_f32 v[20:21], v[28:29], v[20:21], v[6:7] op_sel:[0,1,0]
	v_pk_fma_f32 v[6:7], v[28:29], v[34:35], v[6:7] neg_lo:[0,0,1] neg_hi:[0,0,1]
	v_pk_fma_f32 v[28:29], v[22:23], v[18:19], v[4:5]
	v_pk_fma_f32 v[4:5], v[22:23], v[18:19], v[4:5] neg_lo:[0,0,1] neg_hi:[0,0,1]
	v_mul_f32_e32 v1, v9, v24
	v_mov_b32_e32 v17, v13
	v_mov_b32_e32 v11, v3
	;; [unrolled: 1-line block ×4, first 2 shown]
	v_fma_f32 v8, v8, v25, -v1
	v_mov_b32_e32 v15, v10
	v_mov_b32_e32 v9, v28
	v_add_f32_e32 v19, v14, v8
	v_pk_add_f32 v[8:9], v[14:15], v[8:9] neg_lo:[0,1] neg_hi:[0,1]
	v_add_f32_e32 v2, v31, v33
	v_mov_b32_e32 v30, v13
	v_mov_b32_e32 v32, v7
	v_pk_add_f32 v[12:13], v[16:17], v[20:21]
	v_pk_add_f32 v[10:11], v[10:11], v[28:29]
	v_mov_b32_e32 v4, v5
	v_mov_b32_e32 v5, v20
	;; [unrolled: 1-line block ×4, first 2 shown]
	v_pk_add_f32 v[6:7], v[30:31], v[32:33] neg_lo:[0,1] neg_hi:[0,1]
	v_pk_add_f32 v[4:5], v[4:5], v[14:15] neg_lo:[0,1] neg_hi:[0,1]
	v_mov_b32_e32 v3, v13
	v_mov_b32_e32 v18, v10
	;; [unrolled: 1-line block ×6, first 2 shown]
	v_pk_add_f32 v[14:15], v[2:3], v[18:19]
	v_pk_add_f32 v[16:17], v[16:17], v[20:21] neg_lo:[0,1] neg_hi:[0,1]
	v_pk_add_f32 v[20:21], v[10:11], v[12:13] neg_lo:[0,1] neg_hi:[0,1]
	v_mov_b32_e32 v24, v4
	v_mov_b32_e32 v25, v9
	;; [unrolled: 1-line block ×5, first 2 shown]
	v_pk_add_f32 v[22:23], v[4:5], v[6:7]
	v_pk_add_f32 v[24:25], v[24:25], v[28:29] neg_lo:[0,1] neg_hi:[0,1]
	v_mov_b32_e32 v28, v8
	v_mov_b32_e32 v5, v7
	v_pk_add_f32 v[10:11], v[12:13], v[14:15]
	v_pk_add_f32 v[4:5], v[28:29], v[4:5] neg_lo:[0,1] neg_hi:[0,1]
	v_pk_add_f32 v[14:15], v[10:11], v[26:27]
	v_pk_mul_f32 v[16:17], v[16:17], s[18:19]
	v_pk_mul_f32 v[24:25], v[24:25], s[30:31]
	v_pk_add_f32 v[12:13], v[22:23], v[8:9]
	v_pk_mul_f32 v[22:23], v[20:21], s[22:23]
	v_pk_mul_f32 v[26:27], v[4:5], s[28:29]
	v_pk_fma_f32 v[10:11], v[10:11], s[16:17], v[14:15] op_sel_hi:[1,0,1] neg_lo:[1,0,0] neg_hi:[1,0,0]
	v_pk_fma_f32 v[20:21], v[20:21], s[22:23], v[16:17]
	v_pk_fma_f32 v[4:5], v[4:5], s[28:29], v[24:25]
	v_pk_add_f32 v[20:21], v[20:21], v[10:11]
	v_pk_fma_f32 v[4:5], v[12:13], s[2:3], v[4:5] op_sel_hi:[1,0,1]
	v_pk_add_f32 v[2:3], v[2:3], v[18:19] neg_lo:[0,1] neg_hi:[0,1]
	v_pk_add_f32 v[28:29], v[20:21], v[4:5]
	v_pk_add_f32 v[4:5], v[20:21], v[4:5] neg_lo:[0,1] neg_hi:[0,1]
	v_mov_b32_e32 v20, v28
	v_mov_b32_e32 v21, v5
	ds_write2_b64 v44, v[14:15], v[20:21] offset1:7
	v_pk_add_f32 v[6:7], v[6:7], v[8:9] neg_lo:[0,1] neg_hi:[0,1]
	v_mov_b32_e32 v8, v22
	v_mov_b32_e32 v9, v17
	;; [unrolled: 1-line block ×6, first 2 shown]
	v_pk_fma_f32 v[8:9], v[2:3], s[26:27], v[8:9] op_sel_hi:[1,0,1] neg_lo:[1,0,1] neg_hi:[1,0,1]
	v_pk_fma_f32 v[14:15], v[6:7], s[24:25], v[14:15] op_sel_hi:[1,0,1] neg_lo:[1,0,1] neg_hi:[1,0,1]
	;; [unrolled: 1-line block ×4, first 2 shown]
	v_pk_add_f32 v[8:9], v[8:9], v[10:11]
	v_pk_fma_f32 v[14:15], v[12:13], s[2:3], v[14:15] op_sel_hi:[1,0,1]
	v_pk_add_f32 v[2:3], v[2:3], v[10:11]
	v_pk_fma_f32 v[6:7], v[12:13], s[2:3], v[6:7] op_sel_hi:[1,0,1]
	v_pk_add_f32 v[18:19], v[8:9], v[14:15]
	v_pk_add_f32 v[8:9], v[8:9], v[14:15] neg_lo:[0,1] neg_hi:[0,1]
	v_pk_add_f32 v[10:11], v[2:3], v[6:7] neg_lo:[0,1] neg_hi:[0,1]
	v_pk_add_f32 v[2:3], v[2:3], v[6:7]
	s_mov_b32 s2, 0x924924a
	v_mov_b32_e32 v15, v9
	v_mov_b32_e32 v7, v3
	;; [unrolled: 1-line block ×4, first 2 shown]
	v_mul_hi_u32 v1, v0, s2
	ds_write2_b64 v44, v[2:3], v[8:9] offset0:28 offset1:35
	v_mul_u32_u24_e32 v2, 28, v1
	v_sub_u32_e32 v0, v0, v2
	v_add_u32_e32 v2, s34, v0
	v_cmp_gt_u32_e32 vcc, s12, v2
	v_mov_b32_e32 v14, v18
	v_mov_b32_e32 v6, v10
	;; [unrolled: 1-line block ×3, first 2 shown]
	s_or_b64 s[4:5], s[20:21], vcc
	ds_write2_b64 v44, v[14:15], v[6:7] offset0:14 offset1:21
	ds_write_b64 v44, v[4:5] offset:336
	s_waitcnt lgkmcnt(0)
	s_barrier
	s_and_saveexec_b64 s[16:17], s[4:5]
	s_cbranch_execz .LBB0_18
; %bb.17:
	s_load_dwordx2 s[0:1], s[0:1], 0x60
	s_mul_i32 s4, s9, s34
	s_mul_hi_u32 s5, s8, s34
	s_mul_i32 s2, s33, s10
	s_add_i32 s5, s5, s4
	s_mul_i32 s4, s8, s34
	s_mul_i32 s7, s15, s13
	s_mul_hi_u32 s10, s14, s13
	s_add_i32 s11, s10, s7
	s_mul_i32 s10, s14, s13
	v_mad_u64_u32 v[4:5], s[12:13], s8, v0, 0
	s_lshl_b64 s[4:5], s[4:5], 3
	v_mov_b32_e32 v2, v5
	s_waitcnt lgkmcnt(0)
	s_add_u32 s4, s0, s4
	v_mad_u64_u32 v[2:3], s[8:9], s9, v0, v[2:3]
	v_mul_lo_u32 v8, v1, s6
	v_mul_i32_i24_e32 v0, 0x188, v0
	v_lshlrev_b32_e32 v1, 3, v1
	s_addc_u32 s5, s1, s5
	s_lshl_b64 s[0:1], s[2:3], 3
	v_add3_u32 v12, 0, v0, v1
	s_add_u32 s2, s4, s0
	v_mov_b32_e32 v5, v2
	s_addc_u32 s3, s5, s1
	s_lshl_b64 s[0:1], s[10:11], 3
	ds_read2_b64 v[0:3], v12 offset1:7
	s_add_u32 s0, s2, s0
	s_addc_u32 s1, s3, s1
	v_mov_b32_e32 v9, 0
	v_lshl_add_u64 v[10:11], v[4:5], 3, s[0:1]
	v_lshl_add_u64 v[4:5], v[8:9], 3, v[10:11]
	s_waitcnt lgkmcnt(0)
	global_store_dwordx2 v[4:5], v[0:1], off
	ds_read2_b64 v[4:7], v12 offset0:14 offset1:21
	s_mul_i32 s0, s6, 7
	v_add_u32_e32 v8, s0, v8
	v_lshl_add_u64 v[0:1], v[8:9], 3, v[10:11]
	v_add_u32_e32 v8, s0, v8
	global_store_dwordx2 v[0:1], v[2:3], off
	v_lshl_add_u64 v[0:1], v[8:9], 3, v[10:11]
	s_waitcnt lgkmcnt(0)
	global_store_dwordx2 v[0:1], v[4:5], off
	ds_read2_b64 v[0:3], v12 offset0:28 offset1:35
	v_add_u32_e32 v8, s0, v8
	v_lshl_add_u64 v[4:5], v[8:9], 3, v[10:11]
	v_add_u32_e32 v8, s0, v8
	global_store_dwordx2 v[4:5], v[6:7], off
	v_lshl_add_u64 v[4:5], v[8:9], 3, v[10:11]
	s_waitcnt lgkmcnt(0)
	global_store_dwordx2 v[4:5], v[0:1], off
	ds_read_b64 v[0:1], v12 offset:336
	v_add_u32_e32 v8, s0, v8
	v_lshl_add_u64 v[4:5], v[8:9], 3, v[10:11]
	v_add_u32_e32 v8, s0, v8
	global_store_dwordx2 v[4:5], v[2:3], off
	v_lshl_add_u64 v[2:3], v[8:9], 3, v[10:11]
	s_waitcnt lgkmcnt(0)
	global_store_dwordx2 v[2:3], v[0:1], off
.LBB0_18:
	s_endpgm
	.section	.rodata,"a",@progbits
	.p2align	6, 0x0
	.amdhsa_kernel fft_rtc_back_len49_factors_7_7_wgs_196_tpt_7_sp_op_CI_CI_sbrc_z_xy_unaligned
		.amdhsa_group_segment_fixed_size 0
		.amdhsa_private_segment_fixed_size 0
		.amdhsa_kernarg_size 104
		.amdhsa_user_sgpr_count 2
		.amdhsa_user_sgpr_dispatch_ptr 0
		.amdhsa_user_sgpr_queue_ptr 0
		.amdhsa_user_sgpr_kernarg_segment_ptr 1
		.amdhsa_user_sgpr_dispatch_id 0
		.amdhsa_user_sgpr_kernarg_preload_length 0
		.amdhsa_user_sgpr_kernarg_preload_offset 0
		.amdhsa_user_sgpr_private_segment_size 0
		.amdhsa_uses_dynamic_stack 0
		.amdhsa_enable_private_segment 0
		.amdhsa_system_sgpr_workgroup_id_x 1
		.amdhsa_system_sgpr_workgroup_id_y 0
		.amdhsa_system_sgpr_workgroup_id_z 0
		.amdhsa_system_sgpr_workgroup_info 0
		.amdhsa_system_vgpr_workitem_id 0
		.amdhsa_next_free_vgpr 45
		.amdhsa_next_free_sgpr 40
		.amdhsa_accum_offset 48
		.amdhsa_reserve_vcc 1
		.amdhsa_float_round_mode_32 0
		.amdhsa_float_round_mode_16_64 0
		.amdhsa_float_denorm_mode_32 3
		.amdhsa_float_denorm_mode_16_64 3
		.amdhsa_dx10_clamp 1
		.amdhsa_ieee_mode 1
		.amdhsa_fp16_overflow 0
		.amdhsa_tg_split 0
		.amdhsa_exception_fp_ieee_invalid_op 0
		.amdhsa_exception_fp_denorm_src 0
		.amdhsa_exception_fp_ieee_div_zero 0
		.amdhsa_exception_fp_ieee_overflow 0
		.amdhsa_exception_fp_ieee_underflow 0
		.amdhsa_exception_fp_ieee_inexact 0
		.amdhsa_exception_int_div_zero 0
	.end_amdhsa_kernel
	.text
.Lfunc_end0:
	.size	fft_rtc_back_len49_factors_7_7_wgs_196_tpt_7_sp_op_CI_CI_sbrc_z_xy_unaligned, .Lfunc_end0-fft_rtc_back_len49_factors_7_7_wgs_196_tpt_7_sp_op_CI_CI_sbrc_z_xy_unaligned
                                        ; -- End function
	.section	.AMDGPU.csdata,"",@progbits
; Kernel info:
; codeLenInByte = 3444
; NumSgprs: 46
; NumVgprs: 45
; NumAgprs: 0
; TotalNumVgprs: 45
; ScratchSize: 0
; MemoryBound: 0
; FloatMode: 240
; IeeeMode: 1
; LDSByteSize: 0 bytes/workgroup (compile time only)
; SGPRBlocks: 5
; VGPRBlocks: 5
; NumSGPRsForWavesPerEU: 46
; NumVGPRsForWavesPerEU: 45
; AccumOffset: 48
; Occupancy: 8
; WaveLimiterHint : 1
; COMPUTE_PGM_RSRC2:SCRATCH_EN: 0
; COMPUTE_PGM_RSRC2:USER_SGPR: 2
; COMPUTE_PGM_RSRC2:TRAP_HANDLER: 0
; COMPUTE_PGM_RSRC2:TGID_X_EN: 1
; COMPUTE_PGM_RSRC2:TGID_Y_EN: 0
; COMPUTE_PGM_RSRC2:TGID_Z_EN: 0
; COMPUTE_PGM_RSRC2:TIDIG_COMP_CNT: 0
; COMPUTE_PGM_RSRC3_GFX90A:ACCUM_OFFSET: 11
; COMPUTE_PGM_RSRC3_GFX90A:TG_SPLIT: 0
	.text
	.p2alignl 6, 3212836864
	.fill 256, 4, 3212836864
	.type	__hip_cuid_9d0b585a17c91465,@object ; @__hip_cuid_9d0b585a17c91465
	.section	.bss,"aw",@nobits
	.globl	__hip_cuid_9d0b585a17c91465
__hip_cuid_9d0b585a17c91465:
	.byte	0                               ; 0x0
	.size	__hip_cuid_9d0b585a17c91465, 1

	.ident	"AMD clang version 19.0.0git (https://github.com/RadeonOpenCompute/llvm-project roc-6.4.0 25133 c7fe45cf4b819c5991fe208aaa96edf142730f1d)"
	.section	".note.GNU-stack","",@progbits
	.addrsig
	.addrsig_sym __hip_cuid_9d0b585a17c91465
	.amdgpu_metadata
---
amdhsa.kernels:
  - .agpr_count:     0
    .args:
      - .actual_access:  read_only
        .address_space:  global
        .offset:         0
        .size:           8
        .value_kind:     global_buffer
      - .offset:         8
        .size:           8
        .value_kind:     by_value
      - .actual_access:  read_only
        .address_space:  global
        .offset:         16
        .size:           8
        .value_kind:     global_buffer
      - .actual_access:  read_only
        .address_space:  global
        .offset:         24
        .size:           8
        .value_kind:     global_buffer
      - .actual_access:  read_only
        .address_space:  global
        .offset:         32
        .size:           8
        .value_kind:     global_buffer
      - .offset:         40
        .size:           8
        .value_kind:     by_value
      - .actual_access:  read_only
        .address_space:  global
        .offset:         48
        .size:           8
        .value_kind:     global_buffer
      - .actual_access:  read_only
        .address_space:  global
        .offset:         56
        .size:           8
        .value_kind:     global_buffer
      - .offset:         64
        .size:           4
        .value_kind:     by_value
      - .actual_access:  read_only
        .address_space:  global
        .offset:         72
        .size:           8
        .value_kind:     global_buffer
      - .actual_access:  read_only
        .address_space:  global
        .offset:         80
        .size:           8
        .value_kind:     global_buffer
      - .actual_access:  read_only
        .address_space:  global
        .offset:         88
        .size:           8
        .value_kind:     global_buffer
      - .actual_access:  write_only
        .address_space:  global
        .offset:         96
        .size:           8
        .value_kind:     global_buffer
    .group_segment_fixed_size: 0
    .kernarg_segment_align: 8
    .kernarg_segment_size: 104
    .language:       OpenCL C
    .language_version:
      - 2
      - 0
    .max_flat_workgroup_size: 196
    .name:           fft_rtc_back_len49_factors_7_7_wgs_196_tpt_7_sp_op_CI_CI_sbrc_z_xy_unaligned
    .private_segment_fixed_size: 0
    .sgpr_count:     46
    .sgpr_spill_count: 0
    .symbol:         fft_rtc_back_len49_factors_7_7_wgs_196_tpt_7_sp_op_CI_CI_sbrc_z_xy_unaligned.kd
    .uniform_work_group_size: 1
    .uses_dynamic_stack: false
    .vgpr_count:     45
    .vgpr_spill_count: 0
    .wavefront_size: 64
amdhsa.target:   amdgcn-amd-amdhsa--gfx950
amdhsa.version:
  - 1
  - 2
...

	.end_amdgpu_metadata
